;; amdgpu-corpus repo=ROCm/rocFFT kind=compiled arch=gfx1030 opt=O3
	.text
	.amdgcn_target "amdgcn-amd-amdhsa--gfx1030"
	.amdhsa_code_object_version 6
	.protected	bluestein_single_fwd_len3072_dim1_sp_op_CI_CI ; -- Begin function bluestein_single_fwd_len3072_dim1_sp_op_CI_CI
	.globl	bluestein_single_fwd_len3072_dim1_sp_op_CI_CI
	.p2align	8
	.type	bluestein_single_fwd_len3072_dim1_sp_op_CI_CI,@function
bluestein_single_fwd_len3072_dim1_sp_op_CI_CI: ; @bluestein_single_fwd_len3072_dim1_sp_op_CI_CI
; %bb.0:
	s_load_dwordx4 s[12:15], s[4:5], 0x28
	s_mov_b32 s7, 0
	s_mov_b32 s1, exec_lo
	s_waitcnt lgkmcnt(0)
	v_cmpx_lt_u64_e64 s[6:7], s[12:13]
	s_cbranch_execz .LBB0_2
; %bb.1:
	s_clause 0x1
	s_load_dwordx4 s[0:3], s[4:5], 0x18
	s_load_dwordx4 s[8:11], s[4:5], 0x0
	v_mov_b32_e32 v86, s7
	v_mov_b32_e32 v85, s6
	v_or_b32_e32 v25, 0x200, v0
	v_lshlrev_b32_e32 v124, 3, v0
	v_or_b32_e32 v49, 0x100, v0
	v_mul_lo_u16 v26, 0xab, v0
	s_load_dwordx2 s[4:5], s[4:5], 0x38
	v_lshlrev_b32_e32 v57, 3, v25
	v_or_b32_e32 v55, 0x2000, v124
	v_or_b32_e32 v53, 0x3000, v124
	;; [unrolled: 1-line block ×4, first 2 shown]
	v_lshlrev_b32_e32 v122, 3, v49
	v_or_b32_e32 v123, 0x1800, v124
	v_or_b32_e32 v60, 0x2800, v124
	;; [unrolled: 1-line block ×5, first 2 shown]
	s_waitcnt lgkmcnt(0)
	s_load_dwordx4 s[16:19], s[0:1], 0x0
	s_add_u32 s6, s8, 0x6000
	s_addc_u32 s7, s9, 0
	s_clause 0x4
	global_load_dwordx2 v[63:64], v124, s[8:9]
	global_load_dwordx2 v[61:62], v57, s[8:9]
	;; [unrolled: 1-line block ×5, first 2 shown]
	v_mul_u32_u24_e32 v24, 6, v49
	v_lshlrev_b32_e32 v131, 3, v24
	s_waitcnt lgkmcnt(0)
	v_mad_u64_u32 v[1:2], null, s18, v85, 0
	v_mad_u64_u32 v[3:4], null, s16, v0, 0
	s_lshl_b64 s[0:1], s[16:17], 12
	s_mul_i32 s12, s17, 0xffffb800
	s_sub_i32 s12, s12, s16
	v_mad_u64_u32 v[5:6], null, s19, v85, v[2:3]
	v_mad_u64_u32 v[6:7], null, s17, v0, v[4:5]
	v_mov_b32_e32 v2, v5
	v_lshlrev_b64 v[1:2], 3, v[1:2]
	v_mov_b32_e32 v4, v6
	v_add_co_u32 v1, vcc_lo, s14, v1
	v_lshlrev_b64 v[3:4], 3, v[3:4]
	v_add_co_ci_u32_e32 v2, vcc_lo, s15, v2, vcc_lo
	v_add_co_u32 v1, vcc_lo, v1, v3
	v_add_co_ci_u32_e32 v2, vcc_lo, v2, v4, vcc_lo
	v_add_co_u32 v3, vcc_lo, v1, s0
	v_add_co_ci_u32_e32 v4, vcc_lo, s1, v2, vcc_lo
	global_load_dwordx2 v[1:2], v[1:2], off
	v_add_co_u32 v5, vcc_lo, v3, s0
	v_add_co_ci_u32_e32 v6, vcc_lo, s1, v4, vcc_lo
	s_clause 0x1
	global_load_dwordx2 v[77:78], v51, s[8:9]
	global_load_dwordx2 v[71:72], v122, s[8:9]
	global_load_dwordx2 v[3:4], v[3:4], off
	global_load_dwordx2 v[73:74], v123, s[8:9]
	v_add_co_u32 v7, vcc_lo, v5, s0
	v_add_co_ci_u32_e32 v8, vcc_lo, s1, v6, vcc_lo
	global_load_dwordx2 v[75:76], v60, s[8:9]
	v_add_co_u32 v9, vcc_lo, v7, s0
	v_add_co_ci_u32_e32 v10, vcc_lo, s1, v8, vcc_lo
	global_load_dwordx2 v[5:6], v[5:6], off
	global_load_dwordx2 v[79:80], v56, s[8:9]
	v_add_co_u32 v11, vcc_lo, v9, s0
	v_add_co_ci_u32_e32 v12, vcc_lo, s1, v10, vcc_lo
	s_clause 0x1
	global_load_dwordx2 v[7:8], v[7:8], off
	global_load_dwordx2 v[9:10], v[9:10], off
	v_mad_u64_u32 v[13:14], null, 0xffffb800, s16, v[11:12]
	global_load_dwordx2 v[11:12], v[11:12], off
	v_add_nc_u32_e32 v14, s12, v14
	v_add_co_u32 v15, vcc_lo, v13, s0
	v_add_co_ci_u32_e32 v16, vcc_lo, s1, v14, vcc_lo
	global_load_dwordx2 v[18:19], v[13:14], off
	v_add_co_u32 v13, vcc_lo, v15, s0
	v_add_co_ci_u32_e32 v14, vcc_lo, s1, v16, vcc_lo
	global_load_dwordx2 v[20:21], v[15:16], off
	;; [unrolled: 3-line block ×4, first 2 shown]
	v_add_co_u32 v15, vcc_lo, v13, s0
	v_add_co_ci_u32_e32 v16, vcc_lo, s1, v14, vcc_lo
	global_load_dwordx2 v[81:82], v58, s[8:9]
	global_load_dwordx2 v[29:30], v[13:14], off
	global_load_dwordx2 v[83:84], v59, s[8:9]
	global_load_dwordx2 v[31:32], v[15:16], off
	v_mul_u32_u24_e32 v13, 0x2aab, v49
	v_mul_u32_u24_e32 v14, 0x2aab, v25
	;; [unrolled: 1-line block ×3, first 2 shown]
	v_lshrrev_b16 v15, 10, v26
	s_load_dwordx4 s[0:3], s[2:3], 0x0
	v_lshrrev_b32_e32 v13, 16, v13
	v_lshrrev_b32_e32 v14, 16, v14
	v_lshlrev_b32_e32 v54, 3, v16
	v_mul_lo_u16 v17, v15, 6
	v_mul_lo_u16 v33, v13, 6
	;; [unrolled: 1-line block ×4, first 2 shown]
	v_sub_nc_u16 v37, v0, v17
	v_mul_lo_u16 v14, v14, 24
	v_sub_nc_u16 v16, v49, v33
	v_sub_nc_u16 v17, v25, v34
	s_waitcnt vmcnt(18)
	v_mul_f32_e32 v33, v2, v64
	v_mul_f32_e32 v36, v1, v64
	s_waitcnt vmcnt(15)
	v_mul_f32_e32 v35, v4, v62
	v_mul_f32_e32 v38, v3, v62
	v_fmac_f32_e32 v33, v1, v63
	v_fma_f32 v34, v2, v63, -v36
	v_fmac_f32_e32 v35, v3, v61
	v_fma_f32 v36, v4, v61, -v38
	s_waitcnt vmcnt(12)
	v_mul_f32_e32 v1, v6, v66
	v_mul_f32_e32 v2, v5, v66
	s_waitcnt vmcnt(10)
	v_mul_f32_e32 v3, v8, v68
	v_mul_f32_e32 v4, v7, v68
	v_fmac_f32_e32 v1, v5, v65
	s_waitcnt vmcnt(9)
	v_mul_f32_e32 v5, v10, v70
	v_fma_f32 v2, v6, v65, -v2
	v_fmac_f32_e32 v3, v7, v67
	v_fma_f32 v4, v8, v67, -v4
	v_mul_f32_e32 v6, v9, v70
	v_fmac_f32_e32 v5, v9, v69
	s_waitcnt vmcnt(8)
	v_mul_f32_e32 v9, v12, v78
	v_mul_f32_e32 v38, v11, v78
	v_fma_f32 v6, v10, v69, -v6
	v_fmac_f32_e32 v9, v11, v77
	v_fma_f32 v10, v12, v77, -v38
	s_waitcnt vmcnt(7)
	v_mul_f32_e32 v7, v19, v72
	v_mul_f32_e32 v8, v18, v72
	v_fmac_f32_e32 v7, v18, v71
	v_fma_f32 v8, v19, v71, -v8
	s_waitcnt vmcnt(6)
	v_mul_f32_e32 v11, v21, v74
	v_mul_f32_e32 v12, v20, v74
	ds_write2st64_b64 v124, v[33:34], v[7:8] offset1:4
	s_waitcnt vmcnt(5)
	v_mul_f32_e32 v7, v23, v76
	v_mul_f32_e32 v8, v22, v76
	v_fmac_f32_e32 v11, v20, v73
	s_waitcnt vmcnt(4)
	v_mul_f32_e32 v18, v28, v80
	v_mul_f32_e32 v19, v27, v80
	v_fma_f32 v12, v21, v73, -v12
	s_waitcnt vmcnt(2)
	v_mul_f32_e32 v20, v30, v82
	v_mul_f32_e32 v21, v29, v82
	v_fmac_f32_e32 v7, v22, v75
	v_fma_f32 v8, v23, v75, -v8
	s_waitcnt vmcnt(0)
	v_mul_f32_e32 v22, v32, v84
	v_mul_f32_e32 v23, v31, v84
	v_fmac_f32_e32 v18, v27, v79
	v_fma_f32 v19, v28, v79, -v19
	v_fmac_f32_e32 v20, v29, v81
	v_fma_f32 v21, v30, v81, -v21
	;; [unrolled: 2-line block ×3, first 2 shown]
	ds_write2st64_b64 v124, v[35:36], v[11:12] offset0:8 offset1:12
	ds_write2st64_b64 v124, v[1:2], v[7:8] offset0:16 offset1:20
	;; [unrolled: 1-line block ×5, first 2 shown]
	s_waitcnt lgkmcnt(0)
	s_barrier
	buffer_gl0_inv
	ds_read2st64_b64 v[1:4], v124 offset1:4
	ds_read2st64_b64 v[5:8], v124 offset0:16 offset1:20
	ds_read2st64_b64 v[9:12], v124 offset0:32 offset1:36
	;; [unrolled: 1-line block ×5, first 2 shown]
	v_mul_lo_u16 v23, v16, 24
	v_mul_lo_u16 v35, v17, 24
	v_and_b32_e32 v18, 0xff, v37
	s_waitcnt lgkmcnt(0)
	s_barrier
	v_and_b32_e32 v36, 0xffff, v23
	v_and_b32_e32 v37, 0xffff, v35
	v_mad_u64_u32 v[23:24], null, v18, 24, s[10:11]
	buffer_gl0_inv
	v_add_co_u32 v35, s8, s10, v36
	v_add_co_ci_u32_e64 v36, null, s11, 0, s8
	v_add_f32_e32 v38, v1, v5
	v_add_f32_e32 v39, v5, v9
	v_sub_f32_e32 v40, v6, v10
	v_add_f32_e32 v41, v2, v6
	v_add_f32_e32 v6, v6, v10
	;; [unrolled: 1-line block ×4, first 2 shown]
	v_sub_f32_e32 v44, v28, v32
	v_add_f32_e32 v45, v20, v28
	v_add_f32_e32 v28, v28, v32
	;; [unrolled: 1-line block ×3, first 2 shown]
	v_sub_f32_e32 v48, v8, v12
	v_add_f32_e32 v50, v4, v8
	v_add_f32_e32 v8, v8, v12
	;; [unrolled: 1-line block ×4, first 2 shown]
	v_sub_f32_e32 v88, v30, v34
	v_add_f32_e32 v89, v22, v30
	v_add_f32_e32 v30, v30, v34
	v_sub_f32_e32 v5, v5, v9
	v_sub_f32_e32 v27, v27, v31
	;; [unrolled: 1-line block ×3, first 2 shown]
	v_add_f32_e32 v9, v38, v9
	v_fma_f32 v1, -0.5, v39, v1
	v_add_f32_e32 v10, v41, v10
	v_fma_f32 v2, -0.5, v6, v2
	;; [unrolled: 2-line block ×4, first 2 shown]
	v_add_f32_e32 v32, v46, v11
	v_fmac_f32_e32 v4, -0.5, v8
	v_add_f32_e32 v8, v86, v33
	v_fma_f32 v21, -0.5, v87, v21
	v_fmac_f32_e32 v22, -0.5, v30
	v_add_f32_e32 v47, v7, v11
	v_sub_f32_e32 v7, v7, v11
	v_add_f32_e32 v38, v50, v12
	v_add_f32_e32 v33, v89, v34
	v_fmamk_f32 v34, v40, 0x3f5db3d7, v1
	v_fmac_f32_e32 v1, 0xbf5db3d7, v40
	v_fmamk_f32 v39, v5, 0xbf5db3d7, v2
	v_fmac_f32_e32 v2, 0x3f5db3d7, v5
	v_fmamk_f32 v40, v44, 0x3f5db3d7, v31
	v_add_f32_e32 v5, v9, v29
	v_add_f32_e32 v6, v10, v19
	v_sub_f32_e32 v11, v9, v29
	v_sub_f32_e32 v12, v10, v19
	v_add_f32_e32 v19, v32, v8
	v_sub_f32_e32 v29, v32, v8
	v_fmamk_f32 v8, v27, 0xbf5db3d7, v28
	v_fmac_f32_e32 v31, 0xbf5db3d7, v44
	v_fmac_f32_e32 v28, 0x3f5db3d7, v27
	v_fmamk_f32 v9, v88, 0x3f5db3d7, v21
	v_fmamk_f32 v10, v90, 0xbf5db3d7, v22
	v_fmac_f32_e32 v21, 0xbf5db3d7, v88
	v_fmac_f32_e32 v22, 0x3f5db3d7, v90
	v_mul_f32_e32 v27, 0x3f5db3d7, v8
	v_mul_f32_e32 v44, 0xbf5db3d7, v40
	v_mul_f32_e32 v32, -0.5, v31
	v_mul_f32_e32 v45, -0.5, v28
	v_fma_f32 v3, -0.5, v47, v3
	v_mul_f32_e32 v46, 0x3f5db3d7, v10
	v_mul_f32_e32 v47, 0xbf5db3d7, v9
	v_mul_f32_e32 v42, -0.5, v21
	v_mul_f32_e32 v43, -0.5, v22
	v_fmac_f32_e32 v27, 0.5, v40
	v_fmac_f32_e32 v44, 0.5, v8
	v_fmac_f32_e32 v32, 0x3f5db3d7, v28
	v_fmac_f32_e32 v45, 0xbf5db3d7, v31
	v_add_f32_e32 v20, v38, v33
	v_sub_f32_e32 v30, v38, v33
	v_fmamk_f32 v38, v48, 0x3f5db3d7, v3
	v_fmamk_f32 v41, v7, 0xbf5db3d7, v4
	v_fmac_f32_e32 v46, 0.5, v9
	v_fmac_f32_e32 v47, 0.5, v10
	v_fmac_f32_e32 v3, 0xbf5db3d7, v48
	v_fmac_f32_e32 v4, 0x3f5db3d7, v7
	v_fmac_f32_e32 v42, 0x3f5db3d7, v22
	v_fmac_f32_e32 v43, 0xbf5db3d7, v21
	v_add_f32_e32 v7, v34, v27
	v_add_f32_e32 v8, v39, v44
	;; [unrolled: 1-line block ×4, first 2 shown]
	v_sub_f32_e32 v31, v34, v27
	v_sub_f32_e32 v33, v1, v32
	;; [unrolled: 1-line block ×4, first 2 shown]
	v_add_f32_e32 v21, v38, v46
	v_add_f32_e32 v22, v41, v47
	;; [unrolled: 1-line block ×4, first 2 shown]
	v_sub_f32_e32 v1, v38, v46
	v_sub_f32_e32 v3, v3, v42
	;; [unrolled: 1-line block ×4, first 2 shown]
	ds_write_b128 v54, v[5:8]
	ds_write_b128 v54, v[9:12] offset:16
	ds_write_b128 v54, v[31:34] offset:32
	ds_write_b128 v131, v[19:22]
	ds_write_b128 v131, v[27:30] offset:16
	ds_write_b128 v131, v[1:4] offset:32
	v_add_co_u32 v19, s8, s10, v37
	v_add_co_ci_u32_e64 v20, null, s11, 0, s8
	s_waitcnt lgkmcnt(0)
	s_barrier
	buffer_gl0_inv
	s_clause 0x5
	global_load_dwordx4 v[1:4], v[23:24], off
	global_load_dwordx2 v[86:87], v[23:24], off offset:16
	global_load_dwordx4 v[5:8], v[35:36], off
	global_load_dwordx4 v[9:12], v[19:20], off
	global_load_dwordx2 v[90:91], v[35:36], off offset:16
	global_load_dwordx2 v[88:89], v[19:20], off offset:16
	v_mul_u32_u24_e32 v19, 0xaab, v49
	v_mul_u32_u24_e32 v20, 0xaab, v25
	v_mov_b32_e32 v21, 24
	v_lshrrev_b16 v27, 12, v26
	v_mov_b32_e32 v37, 3
	v_lshrrev_b32_e32 v36, 16, v19
	v_lshrrev_b32_e32 v46, 16, v20
	v_mul_u32_u24_sdwa v15, v15, v21 dst_sel:DWORD dst_unused:UNUSED_PAD src0_sel:WORD_0 src1_sel:DWORD
	v_mul_lo_u16 v22, v27, 24
	v_or_b32_e32 v28, v14, v17
	v_mul_lo_u16 v20, v36, 24
	v_mul_lo_u16 v21, v46, 24
	v_sub_nc_u16 v19, v0, v22
	v_or_b32_e32 v22, v13, v16
	v_sub_nc_u16 v48, v49, v20
	v_sub_nc_u16 v50, v25, v21
	v_or_b32_e32 v21, v15, v18
	v_and_b32_e32 v47, 0xff, v19
	ds_read2st64_b64 v[13:16], v124 offset0:24 offset1:28
	v_mul_lo_u16 v29, v48, 24
	v_mul_lo_u16 v30, v50, 24
	ds_read2st64_b64 v[17:20], v124 offset0:32 offset1:36
	v_lshlrev_b32_e32 v126, 3, v21
	v_lshlrev_b32_sdwa v125, v37, v22 dst_sel:DWORD dst_unused:UNUSED_PAD src0_sel:DWORD src1_sel:WORD_0
	v_and_b32_e32 v32, 0xffff, v29
	ds_read2st64_b64 v[21:24], v124 offset0:16 offset1:20
	v_lshlrev_b32_sdwa v127, v37, v28 dst_sel:DWORD dst_unused:UNUSED_PAD src0_sel:DWORD src1_sel:WORD_0
	v_and_b32_e32 v92, 0xffff, v30
	ds_read2st64_b64 v[28:31], v124 offset0:40 offset1:44
	v_add_co_u32 v44, s8, s10, v32
	ds_read2st64_b64 v[32:35], v124 offset0:8 offset1:12
	ds_read2st64_b64 v[38:41], v124 offset1:4
	v_mad_u64_u32 v[42:43], null, v47, 24, s[10:11]
	v_add_co_ci_u32_e64 v45, null, s11, 0, s8
	s_waitcnt vmcnt(0) lgkmcnt(0)
	s_barrier
	buffer_gl0_inv
	v_mul_f32_e32 v98, v15, v8
	v_mul_f32_e32 v93, v14, v4
	;; [unrolled: 1-line block ×18, first 2 shown]
	v_fma_f32 v13, v13, v3, -v93
	v_fmac_f32_e32 v94, v14, v3
	v_fmac_f32_e32 v98, v16, v7
	v_fma_f32 v16, v19, v86, -v95
	v_fmac_f32_e32 v96, v20, v86
	v_fma_f32 v19, v34, v1, -v109
	;; [unrolled: 2-line block ×3, first 2 shown]
	v_fma_f32 v15, v21, v5, -v99
	v_fmac_f32_e32 v100, v22, v5
	v_fma_f32 v17, v17, v11, -v105
	v_fmac_f32_e32 v106, v18, v11
	;; [unrolled: 2-line block ×5, first 2 shown]
	v_sub_f32_e32 v16, v19, v16
	v_sub_f32_e32 v22, v110, v96
	v_sub_f32_e32 v23, v38, v13
	v_sub_f32_e32 v24, v39, v94
	v_sub_f32_e32 v28, v40, v14
	v_sub_f32_e32 v29, v41, v98
	v_sub_f32_e32 v34, v32, v17
	v_sub_f32_e32 v35, v33, v106
	v_sub_f32_e32 v17, v15, v18
	v_sub_f32_e32 v18, v100, v104
	v_sub_f32_e32 v20, v21, v20
	v_sub_f32_e32 v30, v102, v108
	v_fma_f32 v19, v19, 2.0, -v16
	v_fma_f32 v31, v110, 2.0, -v22
	;; [unrolled: 1-line block ×4, first 2 shown]
	v_sub_f32_e32 v13, v23, v22
	v_add_f32_e32 v14, v24, v16
	v_fma_f32 v40, v40, 2.0, -v28
	v_fma_f32 v41, v41, 2.0, -v29
	v_fma_f32 v93, v32, 2.0, -v34
	v_fma_f32 v94, v33, 2.0, -v35
	v_fma_f32 v32, v15, 2.0, -v17
	v_fma_f32 v33, v100, 2.0, -v18
	v_fma_f32 v95, v21, 2.0, -v20
	v_fma_f32 v96, v102, 2.0, -v30
	v_sub_f32_e32 v15, v28, v18
	v_add_f32_e32 v16, v29, v17
	v_sub_f32_e32 v17, v34, v30
	v_add_f32_e32 v18, v35, v20
	v_sub_f32_e32 v19, v38, v19
	v_sub_f32_e32 v20, v39, v31
	v_fma_f32 v21, v23, 2.0, -v13
	v_fma_f32 v22, v24, 2.0, -v14
	v_sub_f32_e32 v23, v40, v32
	v_sub_f32_e32 v24, v41, v33
	;; [unrolled: 1-line block ×4, first 2 shown]
	v_fma_f32 v32, v34, 2.0, -v17
	v_fma_f32 v33, v35, 2.0, -v18
	;; [unrolled: 1-line block ×10, first 2 shown]
	ds_write2_b64 v126, v[19:20], v[13:14] offset0:12 offset1:18
	ds_write2_b64 v126, v[34:35], v[21:22] offset1:6
	ds_write2_b64 v125, v[38:39], v[28:29] offset1:6
	ds_write2_b64 v125, v[23:24], v[15:16] offset0:12 offset1:18
	ds_write2_b64 v127, v[40:41], v[32:33] offset1:6
	ds_write2_b64 v127, v[30:31], v[17:18] offset0:12 offset1:18
	v_add_co_u32 v28, s8, s10, v92
	v_add_co_ci_u32_e64 v29, null, s11, 0, s8
	s_waitcnt lgkmcnt(0)
	s_barrier
	buffer_gl0_inv
	s_clause 0x5
	global_load_dwordx4 v[13:16], v[42:43], off offset:144
	global_load_dwordx4 v[17:20], v[44:45], off offset:144
	;; [unrolled: 1-line block ×3, first 2 shown]
	global_load_dwordx2 v[92:93], v[42:43], off offset:160
	global_load_dwordx2 v[96:97], v[44:45], off offset:160
	global_load_dwordx2 v[94:95], v[28:29], off offset:160
	v_mul_u32_u24_e32 v28, 0x2ab, v49
	v_lshrrev_b16 v104, 14, v26
	v_mul_u32_u24_e32 v26, 0x2ab, v25
	v_mov_b32_e32 v29, 0x60
	v_mul_lo_u16 v30, 0x60, v36
	v_lshrrev_b32_e32 v105, 16, v28
	v_mul_lo_u16 v28, 0x60, v104
	v_lshrrev_b32_e32 v106, 16, v26
	v_mul_u32_u24_sdwa v26, v27, v29 dst_sel:DWORD dst_unused:UNUSED_PAD src0_sel:WORD_0 src1_sel:DWORD
	v_mul_lo_u16 v31, 0x60, v46
	v_mul_lo_u16 v27, 0x60, v105
	v_sub_nc_u16 v28, v0, v28
	v_mul_lo_u16 v29, 0x60, v106
	v_or_b32_e32 v33, v30, v48
	v_or_b32_e32 v34, v31, v50
	v_sub_nc_u16 v107, v49, v27
	v_and_b32_e32 v108, 0xff, v28
	v_sub_nc_u16 v109, v25, v29
	v_or_b32_e32 v29, v26, v47
	ds_read2st64_b64 v[25:28], v124 offset0:24 offset1:28
	v_mul_lo_u16 v35, v107, 24
	v_lshlrev_b32_sdwa v129, v37, v33 dst_sel:DWORD dst_unused:UNUSED_PAD src0_sel:DWORD src1_sel:WORD_0
	v_mul_lo_u16 v38, v109, 24
	v_lshlrev_b32_e32 v128, 3, v29
	ds_read2st64_b64 v[29:32], v124 offset0:16 offset1:20
	v_and_b32_e32 v42, 0xffff, v35
	v_lshlrev_b32_sdwa v130, v37, v34 dst_sel:DWORD dst_unused:UNUSED_PAD src0_sel:DWORD src1_sel:WORD_0
	ds_read2st64_b64 v[33:36], v124 offset0:32 offset1:36
	v_and_b32_e32 v48, 0xffff, v38
	ds_read2st64_b64 v[38:41], v124 offset0:40 offset1:44
	v_add_co_u32 v102, s8, s10, v42
	ds_read2st64_b64 v[42:45], v124 offset0:8 offset1:12
	ds_read2st64_b64 v[98:101], v124 offset1:4
	v_mad_u64_u32 v[46:47], null, v108, 24, s[10:11]
	v_add_co_ci_u32_e64 v103, null, s11, 0, s8
	s_waitcnt vmcnt(0) lgkmcnt(0)
	s_barrier
	buffer_gl0_inv
	v_mul_f32_e32 v112, v27, v20
	v_mul_f32_e32 v116, v31, v22
	;; [unrolled: 1-line block ×18, first 2 shown]
	v_fma_f32 v25, v25, v15, -v50
	v_fmac_f32_e32 v110, v26, v15
	v_fmac_f32_e32 v112, v28, v19
	;; [unrolled: 1-line block ×3, first 2 shown]
	v_fma_f32 v28, v35, v92, -v117
	v_fmac_f32_e32 v118, v36, v92
	v_fma_f32 v32, v44, v13, -v135
	v_fmac_f32_e32 v136, v45, v13
	v_fma_f32 v26, v27, v19, -v111
	v_fma_f32 v27, v29, v17, -v113
	v_fmac_f32_e32 v114, v30, v17
	v_fma_f32 v29, v31, v21, -v115
	;; [unrolled: 3-line block ×3, first 2 shown]
	v_fmac_f32_e32 v120, v34, v23
	v_fma_f32 v33, v40, v94, -v133
	v_fmac_f32_e32 v134, v41, v94
	v_sub_f32_e32 v28, v32, v28
	v_sub_f32_e32 v34, v136, v118
	;; [unrolled: 1-line block ×12, first 2 shown]
	v_fma_f32 v32, v32, 2.0, -v28
	v_fma_f32 v41, v136, 2.0, -v34
	v_fma_f32 v50, v98, 2.0, -v35
	v_fma_f32 v98, v99, 2.0, -v36
	v_sub_f32_e32 v25, v35, v34
	v_add_f32_e32 v26, v36, v28
	v_fma_f32 v99, v100, 2.0, -v38
	v_fma_f32 v100, v101, 2.0, -v39
	;; [unrolled: 1-line block ×4, first 2 shown]
	v_sub_f32_e32 v27, v38, v40
	v_fma_f32 v111, v42, 2.0, -v44
	v_fma_f32 v112, v43, 2.0, -v45
	v_fma_f32 v40, v29, 2.0, -v30
	v_fma_f32 v42, v116, 2.0, -v33
	v_add_f32_e32 v28, v39, v31
	v_sub_f32_e32 v29, v44, v33
	v_add_f32_e32 v30, v45, v30
	v_sub_f32_e32 v31, v50, v32
	v_sub_f32_e32 v32, v98, v41
	v_fma_f32 v33, v35, 2.0, -v25
	v_fma_f32 v34, v36, 2.0, -v26
	v_sub_f32_e32 v35, v99, v101
	v_sub_f32_e32 v36, v100, v110
	;; [unrolled: 1-line block ×4, first 2 shown]
	v_fma_f32 v42, v44, 2.0, -v29
	v_fma_f32 v43, v45, 2.0, -v30
	;; [unrolled: 1-line block ×10, first 2 shown]
	ds_write2_b64 v128, v[31:32], v[25:26] offset0:48 offset1:72
	ds_write2_b64 v128, v[44:45], v[33:34] offset1:24
	ds_write2_b64 v129, v[98:99], v[38:39] offset1:24
	ds_write2_b64 v129, v[35:36], v[27:28] offset0:48 offset1:72
	ds_write2_b64 v130, v[100:101], v[42:43] offset1:24
	ds_write2_b64 v130, v[40:41], v[29:30] offset0:48 offset1:72
	v_add_co_u32 v38, s8, s10, v48
	v_add_co_ci_u32_e64 v39, null, s11, 0, s8
	s_waitcnt lgkmcnt(0)
	s_barrier
	buffer_gl0_inv
	s_clause 0x5
	global_load_dwordx4 v[25:28], v[46:47], off offset:720
	global_load_dwordx4 v[29:32], v[102:103], off offset:720
	;; [unrolled: 1-line block ×3, first 2 shown]
	global_load_dwordx2 v[98:99], v[46:47], off offset:736
	global_load_dwordx2 v[102:103], v[102:103], off offset:736
	;; [unrolled: 1-line block ×3, first 2 shown]
	v_mov_b32_e32 v50, 0
	v_add_nc_u32_e32 v38, 0xffffff80, v0
	v_mov_b32_e32 v39, 0x180
	v_mul_lo_u16 v41, 0x180, v105
	v_mul_lo_u16 v42, 0x180, v106
	v_cmp_gt_u64_e32 vcc_lo, 0x180, v[49:50]
	v_mad_u64_u32 v[120:121], null, v0, 24, s[10:11]
	v_or_b32_e32 v44, v41, v107
	v_cndmask_b32_e32 v144, v38, v49, vcc_lo
	v_mul_u32_u24_sdwa v38, v104, v39 dst_sel:DWORD dst_unused:UNUSED_PAD src0_sel:WORD_0 src1_sel:DWORD
	v_or_b32_e32 v104, v42, v109
	v_lshlrev_b32_sdwa v133, v37, v44 dst_sel:DWORD dst_unused:UNUSED_PAD src0_sel:DWORD src1_sel:WORD_0
	v_mul_i32_i24_e32 v39, 24, v144
	v_mul_hi_i32_i24_e32 v40, 24, v144
	v_or_b32_e32 v43, v38, v108
	v_lshlrev_b32_sdwa v134, v37, v104 dst_sel:DWORD dst_unused:UNUSED_PAD src0_sel:DWORD src1_sel:WORD_0
	ds_read2st64_b64 v[104:107], v124 offset0:32 offset1:36
	v_add_co_u32 v48, vcc_lo, s10, v39
	v_add_co_ci_u32_e32 v145, vcc_lo, s11, v40, vcc_lo
	ds_read2st64_b64 v[38:41], v124 offset0:24 offset1:28
	v_lshlrev_b32_e32 v132, 3, v43
	ds_read2st64_b64 v[42:45], v124 offset0:16 offset1:20
	ds_read2st64_b64 v[108:111], v124 offset0:40 offset1:44
	;; [unrolled: 1-line block ×3, first 2 shown]
	ds_read2st64_b64 v[116:119], v124 offset1:4
	v_add_co_u32 v46, vcc_lo, 0x800, v48
	v_add_co_ci_u32_e32 v47, vcc_lo, 0, v145, vcc_lo
	v_add_co_u32 v138, vcc_lo, 0x800, v120
	v_add_co_ci_u32_e32 v139, vcc_lo, 0, v121, vcc_lo
	v_add_co_u32 v140, vcc_lo, 0x1000, v120
	v_add_nc_u32_e32 v137, 0x400, v132
	v_add_co_ci_u32_e32 v141, vcc_lo, 0, v121, vcc_lo
	v_add_co_u32 v142, vcc_lo, 0xbd0, v120
	v_add_nc_u32_e32 v136, 0x400, v133
	v_add_co_ci_u32_e32 v143, vcc_lo, 0, v121, vcc_lo
	v_add_nc_u32_e32 v135, 0x400, v134
	s_waitcnt vmcnt(0) lgkmcnt(0)
	s_barrier
	buffer_gl0_inv
	v_mul_f32_e32 v147, v41, v32
	v_mul_f32_e32 v148, v40, v32
	;; [unrolled: 1-line block ×18, first 2 shown]
	v_fma_f32 v37, v38, v27, -v37
	v_fmac_f32_e32 v146, v39, v27
	v_fma_f32 v38, v40, v31, -v147
	v_fmac_f32_e32 v148, v41, v31
	v_fma_f32 v41, v44, v33, -v151
	v_fma_f32 v40, v106, v98, -v153
	v_fmac_f32_e32 v154, v107, v98
	v_fma_f32 v44, v114, v25, -v161
	v_fmac_f32_e32 v162, v115, v25
	;; [unrolled: 2-line block ×4, first 2 shown]
	v_fmac_f32_e32 v152, v45, v33
	v_fma_f32 v42, v104, v35, -v155
	v_fmac_f32_e32 v156, v105, v35
	v_fma_f32 v45, v110, v100, -v159
	v_fmac_f32_e32 v160, v111, v100
	v_sub_f32_e32 v40, v44, v40
	v_sub_f32_e32 v104, v162, v154
	;; [unrolled: 1-line block ×12, first 2 shown]
	v_fma_f32 v44, v44, 2.0, -v40
	v_fma_f32 v110, v162, 2.0, -v104
	;; [unrolled: 1-line block ×4, first 2 shown]
	v_sub_f32_e32 v37, v105, v104
	v_add_f32_e32 v38, v106, v40
	v_fma_f32 v118, v118, 2.0, -v108
	v_fma_f32 v119, v119, 2.0, -v109
	;; [unrolled: 1-line block ×8, first 2 shown]
	v_add_f32_e32 v40, v109, v43
	v_sub_f32_e32 v41, v114, v45
	v_add_f32_e32 v42, v115, v42
	v_sub_f32_e32 v43, v116, v44
	v_sub_f32_e32 v44, v117, v110
	;; [unrolled: 1-line block ×3, first 2 shown]
	v_fma_f32 v104, v105, 2.0, -v37
	v_fma_f32 v105, v106, 2.0, -v38
	v_sub_f32_e32 v106, v118, v111
	v_sub_f32_e32 v107, v119, v146
	;; [unrolled: 1-line block ×4, first 2 shown]
	v_fma_f32 v112, v114, 2.0, -v41
	v_fma_f32 v113, v115, 2.0, -v42
	;; [unrolled: 1-line block ×10, first 2 shown]
	ds_write2_b64 v137, v[43:44], v[37:38] offset0:64 offset1:160
	ds_write2_b64 v132, v[114:115], v[104:105] offset1:96
	ds_write2_b64 v133, v[116:117], v[108:109] offset1:96
	ds_write2_b64 v136, v[106:107], v[39:40] offset0:64 offset1:160
	ds_write2_b64 v134, v[118:119], v[112:113] offset1:96
	ds_write2_b64 v135, v[110:111], v[41:42] offset0:64 offset1:160
	v_add_co_u32 v104, vcc_lo, 0xbd0, v48
	v_add_co_ci_u32_e32 v105, vcc_lo, 0, v145, vcc_lo
	v_add_co_u32 v110, vcc_lo, 0x17d0, v120
	v_add_co_ci_u32_e32 v111, vcc_lo, 0, v121, vcc_lo
	s_waitcnt lgkmcnt(0)
	s_barrier
	buffer_gl0_inv
	s_clause 0x5
	global_load_dwordx4 v[41:44], v[138:139], off offset:976
	global_load_dwordx4 v[37:40], v[46:47], off offset:976
	;; [unrolled: 1-line block ×3, first 2 shown]
	global_load_dwordx2 v[106:107], v[142:143], off offset:16
	global_load_dwordx2 v[108:109], v[104:105], off offset:16
	;; [unrolled: 1-line block ×3, first 2 shown]
	v_cmp_lt_u64_e32 vcc_lo, 0x17f, v[49:50]
	ds_read2st64_b64 v[110:113], v124 offset0:24 offset1:28
	ds_read2st64_b64 v[114:117], v124 offset0:16 offset1:20
	;; [unrolled: 1-line block ×4, first 2 shown]
	v_add_co_u32 v159, s8, s10, v124
	v_cndmask_b32_e64 v49, 0, 0x600, vcc_lo
	v_add_co_ci_u32_e64 v160, null, s11, 0, s8
	v_or_b32_e32 v49, v49, v144
	ds_read2st64_b64 v[143:146], v124 offset0:8 offset1:12
	ds_read2st64_b64 v[147:150], v124 offset1:4
	s_waitcnt vmcnt(0) lgkmcnt(0)
	s_barrier
	buffer_gl0_inv
	v_lshlrev_b32_e32 v138, 3, v49
	v_add_co_u32 v49, vcc_lo, 0x2800, v159
	v_add_co_ci_u32_e32 v50, vcc_lo, 0, v160, vcc_lo
	v_add_co_u32 v151, vcc_lo, 0x3000, v159
	v_add_co_ci_u32_e32 v152, vcc_lo, 0, v160, vcc_lo
	;; [unrolled: 2-line block ×5, first 2 shown]
	v_mul_f32_e32 v161, v111, v44
	v_mul_f32_e32 v162, v110, v44
	;; [unrolled: 1-line block ×18, first 2 shown]
	v_fma_f32 v110, v110, v43, -v161
	v_fmac_f32_e32 v162, v111, v43
	v_fmac_f32_e32 v164, v113, v39
	v_fmac_f32_e32 v168, v117, v45
	v_fma_f32 v113, v120, v106, -v169
	v_fmac_f32_e32 v170, v121, v106
	v_fma_f32 v117, v145, v41, -v177
	v_fmac_f32_e32 v178, v146, v41
	v_fma_f32 v111, v112, v39, -v163
	v_fma_f32 v112, v114, v37, -v165
	v_fmac_f32_e32 v166, v115, v37
	v_fma_f32 v114, v116, v45, -v167
	v_fma_f32 v116, v139, v108, -v173
	v_fmac_f32_e32 v174, v140, v108
	v_fma_f32 v115, v118, v47, -v171
	v_fmac_f32_e32 v172, v119, v47
	v_fma_f32 v118, v141, v104, -v175
	v_fmac_f32_e32 v176, v142, v104
	v_sub_f32_e32 v113, v117, v113
	v_sub_f32_e32 v119, v178, v170
	;; [unrolled: 1-line block ×12, first 2 shown]
	v_fma_f32 v117, v117, 2.0, -v113
	v_fma_f32 v142, v178, 2.0, -v119
	;; [unrolled: 1-line block ×4, first 2 shown]
	v_sub_f32_e32 v110, v120, v119
	v_add_f32_e32 v111, v121, v113
	v_fma_f32 v149, v149, 2.0, -v139
	v_fma_f32 v150, v150, 2.0, -v140
	;; [unrolled: 1-line block ×4, first 2 shown]
	v_sub_f32_e32 v112, v139, v141
	v_fma_f32 v163, v143, 2.0, -v145
	v_fma_f32 v164, v144, 2.0, -v146
	;; [unrolled: 1-line block ×4, first 2 shown]
	v_add_f32_e32 v113, v140, v116
	v_sub_f32_e32 v114, v145, v118
	v_add_f32_e32 v115, v146, v115
	v_sub_f32_e32 v116, v147, v117
	v_sub_f32_e32 v117, v148, v142
	v_fma_f32 v118, v120, 2.0, -v110
	v_fma_f32 v119, v121, 2.0, -v111
	v_sub_f32_e32 v120, v149, v161
	v_sub_f32_e32 v121, v150, v162
	;; [unrolled: 1-line block ×4, first 2 shown]
	v_fma_f32 v143, v145, 2.0, -v114
	v_fma_f32 v144, v146, 2.0, -v115
	;; [unrolled: 1-line block ×10, first 2 shown]
	ds_write2st64_b64 v124, v[116:117], v[110:111] offset0:12 offset1:18
	ds_write2st64_b64 v124, v[145:146], v[118:119] offset1:6
	ds_write2st64_b64 v138, v[147:148], v[139:140] offset1:6
	ds_write2st64_b64 v138, v[120:121], v[112:113] offset0:12 offset1:18
	ds_write2st64_b64 v124, v[149:150], v[143:144] offset0:26 offset1:32
	;; [unrolled: 1-line block ×3, first 2 shown]
	s_waitcnt lgkmcnt(0)
	s_barrier
	buffer_gl0_inv
	s_clause 0x2
	global_load_dwordx2 v[114:115], v[49:50], off offset:2000
	global_load_dwordx2 v[112:113], v[151:152], off offset:2000
	;; [unrolled: 1-line block ×3, first 2 shown]
	v_add_co_u32 v49, vcc_lo, 0x5000, v159
	v_add_co_ci_u32_e32 v50, vcc_lo, 0, v160, vcc_lo
	s_clause 0x2
	global_load_dwordx2 v[118:119], v[155:156], off offset:2000
	global_load_dwordx2 v[116:117], v[157:158], off offset:2000
	;; [unrolled: 1-line block ×3, first 2 shown]
	ds_read2st64_b64 v[139:142], v124 offset0:24 offset1:28
	ds_read2st64_b64 v[143:146], v124 offset0:32 offset1:36
	ds_read2st64_b64 v[147:150], v124 offset0:40 offset1:44
	ds_read2st64_b64 v[151:154], v124 offset1:4
	ds_read2st64_b64 v[155:158], v124 offset0:8 offset1:12
	ds_read2st64_b64 v[159:162], v124 offset0:16 offset1:20
	s_waitcnt vmcnt(5) lgkmcnt(5)
	v_mul_f32_e32 v49, v140, v115
	v_mul_f32_e32 v50, v139, v115
	s_waitcnt vmcnt(4)
	v_mul_f32_e32 v163, v142, v113
	v_mul_f32_e32 v164, v141, v113
	s_waitcnt vmcnt(3) lgkmcnt(4)
	v_mul_f32_e32 v165, v144, v111
	v_mul_f32_e32 v166, v143, v111
	s_waitcnt vmcnt(2)
	v_mul_f32_e32 v167, v146, v119
	v_mul_f32_e32 v168, v145, v119
	;; [unrolled: 6-line block ×3, first 2 shown]
	v_fma_f32 v49, v139, v114, -v49
	v_fmac_f32_e32 v50, v140, v114
	v_fma_f32 v139, v141, v112, -v163
	v_fmac_f32_e32 v164, v142, v112
	;; [unrolled: 2-line block ×6, first 2 shown]
	s_waitcnt lgkmcnt(2)
	v_sub_f32_e32 v49, v151, v49
	v_sub_f32_e32 v50, v152, v50
	v_sub_f32_e32 v139, v153, v139
	v_sub_f32_e32 v140, v154, v164
	s_waitcnt lgkmcnt(1)
	v_sub_f32_e32 v141, v155, v141
	v_sub_f32_e32 v142, v156, v166
	v_sub_f32_e32 v143, v157, v143
	v_sub_f32_e32 v144, v158, v168
	;; [unrolled: 5-line block ×3, first 2 shown]
	v_fma_f32 v149, v151, 2.0, -v49
	v_fma_f32 v150, v152, 2.0, -v50
	;; [unrolled: 1-line block ×12, first 2 shown]
	ds_write2st64_b64 v124, v[49:50], v[139:140] offset0:24 offset1:28
	ds_write2st64_b64 v124, v[141:142], v[143:144] offset0:32 offset1:36
	;; [unrolled: 1-line block ×3, first 2 shown]
	ds_write2st64_b64 v124, v[149:150], v[151:152] offset1:4
	ds_write2st64_b64 v124, v[153:154], v[155:156] offset0:8 offset1:12
	ds_write2st64_b64 v124, v[157:158], v[159:160] offset0:16 offset1:20
	s_waitcnt lgkmcnt(0)
	s_barrier
	buffer_gl0_inv
	s_clause 0xb
	global_load_dwordx2 v[155:156], v124, s[6:7]
	global_load_dwordx2 v[157:158], v122, s[6:7]
	global_load_dwordx2 v[159:160], v57, s[6:7]
	global_load_dwordx2 v[122:123], v123, s[6:7]
	global_load_dwordx2 v[161:162], v55, s[6:7]
	global_load_dwordx2 v[163:164], v60, s[6:7]
	global_load_dwordx2 v[165:166], v53, s[6:7]
	global_load_dwordx2 v[167:168], v56, s[6:7]
	global_load_dwordx2 v[169:170], v52, s[6:7]
	global_load_dwordx2 v[171:172], v58, s[6:7]
	global_load_dwordx2 v[173:174], v51, s[6:7]
	global_load_dwordx2 v[59:60], v59, s[6:7]
	ds_read2st64_b64 v[49:52], v124 offset1:4
	ds_read2st64_b64 v[55:58], v124 offset0:8 offset1:12
	ds_read2st64_b64 v[139:142], v124 offset0:16 offset1:20
	;; [unrolled: 1-line block ×5, first 2 shown]
	s_waitcnt vmcnt(11) lgkmcnt(5)
	v_mul_f32_e32 v176, v49, v156
	v_mul_f32_e32 v175, v50, v156
	s_waitcnt vmcnt(10)
	v_mul_f32_e32 v177, v52, v158
	v_mul_f32_e32 v156, v51, v158
	s_waitcnt vmcnt(9) lgkmcnt(4)
	v_mul_f32_e32 v178, v56, v160
	v_mul_f32_e32 v53, v55, v160
	s_waitcnt vmcnt(8)
	v_mul_f32_e32 v179, v58, v123
	v_mul_f32_e32 v158, v57, v123
	s_waitcnt vmcnt(7) lgkmcnt(3)
	v_mul_f32_e32 v180, v140, v162
	v_fmac_f32_e32 v176, v50, v155
	v_mul_f32_e32 v50, v139, v162
	s_waitcnt vmcnt(6)
	v_mul_f32_e32 v181, v142, v164
	v_mul_f32_e32 v123, v141, v164
	v_fma_f32 v175, v49, v155, -v175
	v_fma_f32 v155, v51, v157, -v177
	s_waitcnt vmcnt(5) lgkmcnt(2)
	v_mul_f32_e32 v51, v144, v166
	v_mul_f32_e32 v160, v143, v166
	s_waitcnt vmcnt(4)
	v_mul_f32_e32 v166, v146, v168
	v_mul_f32_e32 v162, v145, v168
	v_fmac_f32_e32 v156, v52, v157
	v_fma_f32 v52, v55, v159, -v178
	v_fmac_f32_e32 v53, v56, v159
	s_waitcnt vmcnt(3) lgkmcnt(1)
	v_mul_f32_e32 v55, v148, v170
	v_fma_f32 v157, v57, v122, -v179
	v_mul_f32_e32 v56, v147, v170
	v_fmac_f32_e32 v158, v58, v122
	s_waitcnt vmcnt(2)
	v_mul_f32_e32 v57, v150, v172
	v_mul_f32_e32 v58, v149, v172
	v_fma_f32 v49, v139, v161, -v180
	s_waitcnt vmcnt(0) lgkmcnt(0)
	v_mul_f32_e32 v139, v154, v60
	v_fmac_f32_e32 v50, v140, v161
	v_mul_f32_e32 v140, v153, v60
	v_mul_f32_e32 v168, v152, v174
	v_mul_f32_e32 v164, v151, v174
	v_fma_f32 v122, v141, v163, -v181
	v_fmac_f32_e32 v123, v142, v163
	v_fma_f32 v159, v143, v165, -v51
	v_fmac_f32_e32 v160, v144, v165
	;; [unrolled: 2-line block ×7, first 2 shown]
	ds_write2st64_b64 v124, v[175:176], v[155:156] offset1:4
	ds_write2st64_b64 v124, v[52:53], v[157:158] offset0:8 offset1:12
	ds_write2st64_b64 v124, v[49:50], v[122:123] offset0:16 offset1:20
	;; [unrolled: 1-line block ×5, first 2 shown]
	s_waitcnt lgkmcnt(0)
	s_barrier
	buffer_gl0_inv
	ds_read2st64_b64 v[49:52], v124 offset1:4
	ds_read2st64_b64 v[55:58], v124 offset0:16 offset1:20
	ds_read2st64_b64 v[139:142], v124 offset0:32 offset1:36
	;; [unrolled: 1-line block ×5, first 2 shown]
	s_waitcnt lgkmcnt(0)
	s_barrier
	buffer_gl0_inv
	v_add_f32_e32 v53, v49, v55
	v_add_f32_e32 v59, v55, v139
	v_sub_f32_e32 v155, v55, v139
	v_add_f32_e32 v55, v51, v57
	v_add_f32_e32 v158, v143, v147
	;; [unrolled: 1-line block ×3, first 2 shown]
	v_sub_f32_e32 v160, v143, v147
	v_add_f32_e32 v143, v151, v143
	v_add_f32_e32 v165, v146, v150
	v_add_f32_e32 v60, v50, v56
	v_add_f32_e32 v122, v56, v140
	v_sub_f32_e32 v123, v56, v140
	v_add_f32_e32 v56, v57, v141
	v_add_f32_e32 v156, v52, v58
	v_sub_f32_e32 v57, v57, v141
	v_sub_f32_e32 v161, v144, v148
	v_add_f32_e32 v144, v152, v144
	v_add_f32_e32 v164, v154, v146
	;; [unrolled: 1-line block ×5, first 2 shown]
	v_fma_f32 v147, -0.5, v159, v152
	v_add_f32_e32 v162, v153, v145
	v_add_f32_e32 v163, v145, v149
	v_sub_f32_e32 v145, v145, v149
	v_fmac_f32_e32 v154, -0.5, v165
	v_sub_f32_e32 v157, v58, v142
	v_add_f32_e32 v58, v58, v142
	v_add_f32_e32 v60, v60, v140
	;; [unrolled: 1-line block ×5, first 2 shown]
	v_fma_f32 v148, -0.5, v158, v151
	v_fma_f32 v152, -0.5, v56, v51
	v_fmamk_f32 v51, v160, 0x3f5db3d7, v147
	v_add_f32_e32 v143, v162, v149
	v_fma_f32 v122, -0.5, v122, v50
	v_fma_f32 v149, -0.5, v163, v153
	v_fmamk_f32 v153, v145, 0x3f5db3d7, v154
	v_fmac_f32_e32 v154, 0xbf5db3d7, v145
	v_fmac_f32_e32 v147, 0xbf5db3d7, v160
	v_sub_f32_e32 v166, v146, v150
	v_fma_f32 v59, -0.5, v59, v49
	v_fmac_f32_e32 v52, -0.5, v58
	v_fmamk_f32 v58, v161, 0xbf5db3d7, v148
	v_add_f32_e32 v50, v140, v144
	v_sub_f32_e32 v146, v140, v144
	v_mul_f32_e32 v140, 0xbf5db3d7, v51
	v_mul_f32_e32 v51, 0.5, v51
	v_fmamk_f32 v151, v155, 0x3f5db3d7, v122
	v_add_f32_e32 v49, v139, v143
	v_sub_f32_e32 v145, v139, v143
	v_fmac_f32_e32 v148, 0x3f5db3d7, v161
	v_fmac_f32_e32 v122, 0xbf5db3d7, v155
	v_mul_f32_e32 v155, 0xbf5db3d7, v154
	v_mul_f32_e32 v143, -0.5, v154
	v_mul_f32_e32 v144, 0xbf5db3d7, v147
	v_mul_f32_e32 v154, -0.5, v147
	v_add_f32_e32 v55, v53, v141
	v_fmamk_f32 v150, v123, 0xbf5db3d7, v59
	v_sub_f32_e32 v141, v53, v141
	v_fmac_f32_e32 v59, 0x3f5db3d7, v123
	v_fmamk_f32 v53, v166, 0xbf5db3d7, v149
	v_fmac_f32_e32 v149, 0x3f5db3d7, v166
	v_fmamk_f32 v123, v157, 0xbf5db3d7, v152
	v_fmac_f32_e32 v152, 0x3f5db3d7, v157
	v_mul_f32_e32 v156, 0xbf5db3d7, v153
	v_mul_f32_e32 v157, 0.5, v153
	v_fmac_f32_e32 v140, 0.5, v58
	v_fmac_f32_e32 v51, 0x3f5db3d7, v58
	v_fmac_f32_e32 v144, -0.5, v148
	v_fmac_f32_e32 v154, 0x3f5db3d7, v148
	v_add_f32_e32 v56, v60, v142
	v_sub_f32_e32 v142, v60, v142
	v_fmamk_f32 v60, v57, 0x3f5db3d7, v52
	v_fmac_f32_e32 v52, 0xbf5db3d7, v57
	v_fmac_f32_e32 v143, 0x3f5db3d7, v149
	v_fmac_f32_e32 v156, 0.5, v53
	v_fmac_f32_e32 v157, 0x3f5db3d7, v53
	v_fmac_f32_e32 v155, -0.5, v149
	v_add_f32_e32 v57, v150, v140
	v_add_f32_e32 v58, v151, v51
	;; [unrolled: 1-line block ×3, first 2 shown]
	v_sub_f32_e32 v147, v150, v140
	v_add_f32_e32 v140, v122, v154
	v_sub_f32_e32 v149, v59, v144
	v_sub_f32_e32 v148, v151, v51
	;; [unrolled: 1-line block ×3, first 2 shown]
	v_add_f32_e32 v144, v52, v143
	v_sub_f32_e32 v154, v52, v143
	v_add_f32_e32 v51, v123, v156
	v_add_f32_e32 v52, v60, v157
	;; [unrolled: 1-line block ×3, first 2 shown]
	v_sub_f32_e32 v151, v123, v156
	v_sub_f32_e32 v153, v152, v155
	;; [unrolled: 1-line block ×3, first 2 shown]
	ds_write_b128 v54, v[55:58]
	ds_write_b128 v54, v[139:142] offset:16
	ds_write_b128 v54, v[147:150] offset:32
	ds_write_b128 v131, v[49:52]
	ds_write_b128 v131, v[143:146] offset:16
	ds_write_b128 v131, v[151:154] offset:32
	s_waitcnt lgkmcnt(0)
	s_barrier
	buffer_gl0_inv
	ds_read2st64_b64 v[49:52], v124 offset0:40 offset1:44
	ds_read2st64_b64 v[53:56], v124 offset0:32 offset1:36
	;; [unrolled: 1-line block ×5, first 2 shown]
	ds_read2st64_b64 v[147:150], v124 offset1:4
	v_mad_u64_u32 v[122:123], null, s2, v85, 0
	s_waitcnt lgkmcnt(0)
	s_barrier
	buffer_gl0_inv
	v_mul_f32_e32 v131, v91, v50
	v_mul_f32_e32 v91, v91, v49
	;; [unrolled: 1-line block ×18, first 2 shown]
	v_fmac_f32_e32 v131, v90, v49
	v_fma_f32 v49, v90, v50, -v91
	v_fmac_f32_e32 v151, v88, v51
	v_fma_f32 v50, v88, v52, -v89
	;; [unrolled: 2-line block ×6, first 2 shown]
	v_fmac_f32_e32 v156, v3, v139
	v_fmac_f32_e32 v157, v1, v145
	v_fma_f32 v1, v1, v146, -v2
	v_fma_f32 v2, v3, v140, -v4
	v_fmac_f32_e32 v158, v7, v141
	v_fma_f32 v3, v7, v142, -v8
	v_sub_f32_e32 v4, v157, v152
	v_sub_f32_e32 v6, v1, v51
	;; [unrolled: 1-line block ×12, first 2 shown]
	v_fma_f32 v49, v157, 2.0, -v4
	v_fma_f32 v50, v1, 2.0, -v6
	v_sub_f32_e32 v2, v12, v4
	v_fma_f32 v55, v147, 2.0, -v10
	v_fma_f32 v56, v148, 2.0, -v12
	;; [unrolled: 1-line block ×3, first 2 shown]
	v_add_f32_e32 v3, v51, v3
	v_sub_f32_e32 v4, v52, v7
	v_fma_f32 v86, v143, 2.0, -v53
	v_fma_f32 v87, v144, 2.0, -v54
	;; [unrolled: 1-line block ×4, first 2 shown]
	v_add_f32_e32 v1, v10, v6
	v_fma_f32 v57, v149, 2.0, -v51
	v_fma_f32 v58, v150, 2.0, -v52
	;; [unrolled: 1-line block ×3, first 2 shown]
	v_sub_f32_e32 v6, v54, v8
	v_sub_f32_e32 v7, v55, v49
	;; [unrolled: 1-line block ×3, first 2 shown]
	v_fma_f32 v49, v51, 2.0, -v3
	v_fma_f32 v50, v52, 2.0, -v4
	v_sub_f32_e32 v51, v86, v88
	v_sub_f32_e32 v52, v87, v89
	v_add_f32_e32 v5, v53, v11
	v_fma_f32 v9, v10, 2.0, -v1
	v_fma_f32 v10, v12, 2.0, -v2
	v_sub_f32_e32 v11, v57, v59
	v_sub_f32_e32 v12, v58, v60
	v_fma_f32 v59, v86, 2.0, -v51
	v_fma_f32 v60, v87, 2.0, -v52
	v_mad_u64_u32 v[86:87], null, s0, v0, 0
	v_fma_f32 v55, v55, 2.0, -v7
	v_fma_f32 v56, v56, 2.0, -v8
	;; [unrolled: 1-line block ×6, first 2 shown]
	ds_write2_b64 v126, v[7:8], v[1:2] offset0:12 offset1:18
	ds_write2_b64 v126, v[55:56], v[9:10] offset1:6
	ds_write2_b64 v125, v[57:58], v[49:50] offset1:6
	ds_write2_b64 v125, v[11:12], v[3:4] offset0:12 offset1:18
	ds_write2_b64 v127, v[59:60], v[53:54] offset1:6
	ds_write2_b64 v127, v[51:52], v[5:6] offset0:12 offset1:18
	v_mov_b32_e32 v49, v123
	v_mov_b32_e32 v53, v87
	s_waitcnt lgkmcnt(0)
	s_barrier
	buffer_gl0_inv
	ds_read2st64_b64 v[1:4], v124 offset0:40 offset1:44
	ds_read2st64_b64 v[5:8], v124 offset0:32 offset1:36
	v_mad_u64_u32 v[87:88], null, s3, v85, v[49:50]
	ds_read2st64_b64 v[49:52], v124 offset0:24 offset1:28
	ds_read2st64_b64 v[9:12], v124 offset0:16 offset1:20
	v_mad_u64_u32 v[88:89], null, s1, v0, v[53:54]
	ds_read2st64_b64 v[53:56], v124 offset0:8 offset1:12
	ds_read2st64_b64 v[57:60], v124 offset1:4
	s_waitcnt lgkmcnt(0)
	s_barrier
	buffer_gl0_inv
	s_lshl_b64 s[2:3], s[0:1], 12
	s_mulk_i32 s1, 0xb800
	v_mul_f32_e32 v89, v95, v4
	v_mul_f32_e32 v91, v93, v8
	v_mul_f32_e32 v93, v93, v7
	v_mul_f32_e32 v0, v97, v2
	v_mul_f32_e32 v126, v16, v50
	v_mul_f32_e32 v16, v16, v49
	v_mul_f32_e32 v85, v97, v1
	v_mul_f32_e32 v127, v14, v56
	v_mul_f32_e32 v14, v14, v55
	v_mul_f32_e32 v90, v95, v3
	v_mul_f32_e32 v95, v24, v6
	v_mul_f32_e32 v24, v24, v5
	v_mul_f32_e32 v123, v18, v10
	v_mul_f32_e32 v18, v18, v9
	v_mul_f32_e32 v125, v20, v52
	v_mul_f32_e32 v20, v20, v51
	v_mul_f32_e32 v97, v22, v12
	v_mul_f32_e32 v22, v22, v11
	v_fmac_f32_e32 v89, v94, v3
	v_fmac_f32_e32 v91, v92, v7
	v_fma_f32 v3, v92, v8, -v93
	v_fmac_f32_e32 v127, v13, v55
	v_fma_f32 v7, v13, v56, -v14
	;; [unrolled: 2-line block ×4, first 2 shown]
	v_fma_f32 v2, v94, v4, -v90
	v_fma_f32 v4, v23, v6, -v24
	v_fmac_f32_e32 v123, v17, v9
	v_fma_f32 v6, v17, v10, -v18
	v_fmac_f32_e32 v125, v19, v51
	;; [unrolled: 2-line block ×3, first 2 shown]
	v_fmac_f32_e32 v97, v21, v11
	v_fma_f32 v5, v21, v12, -v22
	v_sub_f32_e32 v10, v127, v91
	v_sub_f32_e32 v3, v7, v3
	;; [unrolled: 1-line block ×12, first 2 shown]
	v_fma_f32 v18, v127, 2.0, -v10
	v_fma_f32 v7, v7, 2.0, -v3
	;; [unrolled: 1-line block ×4, first 2 shown]
	v_add_f32_e32 v0, v11, v3
	v_sub_f32_e32 v1, v12, v10
	v_fma_f32 v21, v59, 2.0, -v13
	v_fma_f32 v22, v60, 2.0, -v14
	;; [unrolled: 1-line block ×4, first 2 shown]
	v_add_f32_e32 v2, v13, v9
	v_sub_f32_e32 v3, v14, v8
	v_fma_f32 v24, v53, 2.0, -v16
	v_fma_f32 v49, v54, 2.0, -v17
	;; [unrolled: 1-line block ×4, first 2 shown]
	v_sub_f32_e32 v6, v19, v18
	v_sub_f32_e32 v7, v20, v7
	v_fma_f32 v8, v11, 2.0, -v0
	v_sub_f32_e32 v10, v21, v10
	v_sub_f32_e32 v11, v22, v23
	v_add_f32_e32 v4, v16, v4
	v_sub_f32_e32 v5, v17, v15
	v_fma_f32 v9, v12, 2.0, -v1
	v_fma_f32 v12, v13, 2.0, -v2
	;; [unrolled: 1-line block ×3, first 2 shown]
	v_sub_f32_e32 v14, v24, v50
	v_sub_f32_e32 v15, v49, v51
	v_mov_b32_e32 v123, v87
	v_fma_f32 v18, v19, 2.0, -v6
	v_fma_f32 v19, v20, 2.0, -v7
	;; [unrolled: 1-line block ×8, first 2 shown]
	ds_write2_b64 v128, v[6:7], v[0:1] offset0:48 offset1:72
	ds_write2_b64 v128, v[18:19], v[8:9] offset1:24
	ds_write2_b64 v129, v[20:21], v[12:13] offset1:24
	ds_write2_b64 v129, v[10:11], v[2:3] offset0:48 offset1:72
	ds_write2_b64 v130, v[22:23], v[16:17] offset1:24
	ds_write2_b64 v130, v[14:15], v[4:5] offset0:48 offset1:72
	v_lshlrev_b64 v[16:17], 3, v[122:123]
	s_waitcnt lgkmcnt(0)
	s_barrier
	buffer_gl0_inv
	ds_read2st64_b64 v[0:3], v124 offset0:24 offset1:28
	ds_read2st64_b64 v[4:7], v124 offset0:16 offset1:20
	v_add_co_u32 v24, vcc_lo, s4, v16
	ds_read2st64_b64 v[8:11], v124 offset0:32 offset1:36
	ds_read2st64_b64 v[12:15], v124 offset0:40 offset1:44
	v_add_co_ci_u32_e32 v51, vcc_lo, s5, v17, vcc_lo
	ds_read2st64_b64 v[16:19], v124 offset0:8 offset1:12
	ds_read2st64_b64 v[20:23], v124 offset1:4
	v_mov_b32_e32 v87, v88
	s_waitcnt lgkmcnt(0)
	s_barrier
	buffer_gl0_inv
	v_lshlrev_b64 v[49:50], 3, v[86:87]
	v_mul_f32_e32 v52, v28, v1
	v_mul_f32_e32 v28, v28, v0
	;; [unrolled: 1-line block ×18, first 2 shown]
	v_fmac_f32_e32 v52, v27, v0
	v_fma_f32 v0, v27, v1, -v28
	v_fmac_f32_e32 v53, v31, v2
	v_fma_f32 v1, v31, v3, -v32
	v_fma_f32 v2, v29, v5, -v30
	v_fmac_f32_e32 v56, v35, v8
	v_fmac_f32_e32 v57, v98, v10
	v_fma_f32 v5, v98, v11, -v58
	v_fmac_f32_e32 v87, v25, v18
	v_fma_f32 v8, v25, v19, -v26
	v_fmac_f32_e32 v54, v29, v4
	v_fmac_f32_e32 v55, v33, v6
	v_fma_f32 v3, v35, v9, -v36
	v_fmac_f32_e32 v59, v102, v12
	v_fma_f32 v6, v102, v13, -v60
	v_fma_f32 v4, v33, v7, -v34
	v_fmac_f32_e32 v85, v100, v14
	v_fma_f32 v7, v100, v15, -v86
	v_sub_f32_e32 v9, v20, v52
	v_sub_f32_e32 v10, v21, v0
	;; [unrolled: 1-line block ×12, first 2 shown]
	v_fma_f32 v20, v20, 2.0, -v9
	v_fma_f32 v21, v21, 2.0, -v10
	;; [unrolled: 1-line block ×6, first 2 shown]
	v_add_f32_e32 v0, v9, v0
	v_sub_f32_e32 v1, v10, v1
	v_fma_f32 v14, v54, 2.0, -v3
	v_fma_f32 v15, v2, 2.0, -v5
	;; [unrolled: 1-line block ×6, first 2 shown]
	v_add_f32_e32 v2, v12, v5
	v_add_f32_e32 v4, v18, v7
	v_sub_f32_e32 v5, v19, v6
	v_sub_f32_e32 v6, v20, v11
	;; [unrolled: 1-line block ×4, first 2 shown]
	v_fma_f32 v8, v9, 2.0, -v0
	v_fma_f32 v9, v10, 2.0, -v1
	v_sub_f32_e32 v10, v22, v14
	v_sub_f32_e32 v11, v23, v15
	;; [unrolled: 1-line block ×4, first 2 shown]
	v_fma_f32 v16, v18, 2.0, -v4
	v_fma_f32 v17, v19, 2.0, -v5
	;; [unrolled: 1-line block ×10, first 2 shown]
	ds_write2_b64 v137, v[6:7], v[0:1] offset0:64 offset1:160
	ds_write2_b64 v132, v[18:19], v[8:9] offset1:96
	ds_write2_b64 v133, v[20:21], v[12:13] offset1:96
	ds_write2_b64 v136, v[10:11], v[2:3] offset0:64 offset1:160
	ds_write2_b64 v134, v[22:23], v[16:17] offset1:96
	ds_write2_b64 v135, v[14:15], v[4:5] offset0:64 offset1:160
	s_waitcnt lgkmcnt(0)
	s_barrier
	buffer_gl0_inv
	ds_read2st64_b64 v[6:9], v124 offset0:8 offset1:12
	ds_read2st64_b64 v[10:13], v124 offset0:24 offset1:28
	v_add_co_u32 v0, vcc_lo, v24, v49
	ds_read2st64_b64 v[14:17], v124 offset0:32 offset1:36
	ds_read2st64_b64 v[18:21], v124 offset0:16 offset1:20
	;; [unrolled: 1-line block ×3, first 2 shown]
	ds_read2st64_b64 v[26:29], v124 offset1:4
	v_add_co_ci_u32_e32 v1, vcc_lo, v51, v50, vcc_lo
	s_waitcnt lgkmcnt(0)
	s_barrier
	buffer_gl0_inv
	v_add_co_u32 v2, vcc_lo, v0, s2
	v_add_co_ci_u32_e32 v3, vcc_lo, s3, v1, vcc_lo
	v_add_co_u32 v4, vcc_lo, v2, s2
	v_add_co_ci_u32_e32 v5, vcc_lo, s3, v3, vcc_lo
	v_mul_f32_e32 v30, v42, v9
	v_mul_f32_e32 v31, v42, v8
	v_mul_f32_e32 v32, v44, v11
	v_mul_f32_e32 v33, v44, v10
	v_mul_f32_e32 v34, v107, v17
	v_mul_f32_e32 v35, v40, v13
	v_mul_f32_e32 v36, v40, v12
	v_mul_f32_e32 v40, v107, v16
	v_mul_f32_e32 v42, v38, v19
	v_mul_f32_e32 v38, v38, v18
	v_mul_f32_e32 v44, v109, v23
	v_mul_f32_e32 v49, v109, v22
	v_mul_f32_e32 v50, v46, v21
	v_mul_f32_e32 v46, v46, v20
	v_mul_f32_e32 v51, v48, v15
	v_mul_f32_e32 v48, v48, v14
	v_mul_f32_e32 v52, v105, v25
	v_mul_f32_e32 v53, v105, v24
	v_fmac_f32_e32 v30, v41, v8
	v_fma_f32 v8, v41, v9, -v31
	v_fmac_f32_e32 v32, v43, v10
	v_fma_f32 v9, v43, v11, -v33
	v_fmac_f32_e32 v35, v39, v12
	v_fmac_f32_e32 v34, v106, v16
	v_fma_f32 v12, v106, v17, -v40
	v_fma_f32 v10, v39, v13, -v36
	v_fmac_f32_e32 v42, v37, v18
	v_fma_f32 v11, v37, v19, -v38
	v_fmac_f32_e32 v44, v108, v22
	;; [unrolled: 2-line block ×5, first 2 shown]
	v_fma_f32 v15, v104, v25, -v53
	v_sub_f32_e32 v17, v26, v32
	v_sub_f32_e32 v18, v27, v9
	;; [unrolled: 1-line block ×12, first 2 shown]
	v_fma_f32 v24, v26, 2.0, -v17
	v_fma_f32 v25, v27, 2.0, -v18
	;; [unrolled: 1-line block ×4, first 2 shown]
	v_add_f32_e32 v8, v17, v12
	v_fma_f32 v27, v28, 2.0, -v19
	v_fma_f32 v28, v29, 2.0, -v20
	;; [unrolled: 1-line block ×4, first 2 shown]
	v_sub_f32_e32 v9, v18, v9
	v_add_f32_e32 v10, v19, v10
	v_sub_f32_e32 v11, v20, v21
	v_fma_f32 v31, v6, 2.0, -v22
	v_fma_f32 v32, v7, 2.0, -v23
	;; [unrolled: 1-line block ×4, first 2 shown]
	v_sub_f32_e32 v7, v23, v13
	v_sub_f32_e32 v12, v24, v15
	;; [unrolled: 1-line block ×3, first 2 shown]
	v_add_f32_e32 v6, v22, v14
	v_fma_f32 v14, v17, 2.0, -v8
	v_sub_f32_e32 v16, v27, v29
	v_sub_f32_e32 v17, v28, v30
	v_fma_f32 v15, v18, 2.0, -v9
	v_fma_f32 v18, v19, 2.0, -v10
	;; [unrolled: 1-line block ×3, first 2 shown]
	v_sub_f32_e32 v20, v31, v21
	v_sub_f32_e32 v21, v32, v33
	v_fma_f32 v24, v24, 2.0, -v12
	v_fma_f32 v25, v25, 2.0, -v13
	;; [unrolled: 1-line block ×8, first 2 shown]
	ds_write2st64_b64 v124, v[12:13], v[8:9] offset0:12 offset1:18
	ds_write2st64_b64 v124, v[24:25], v[14:15] offset1:6
	ds_write2st64_b64 v138, v[26:27], v[18:19] offset1:6
	ds_write2st64_b64 v138, v[16:17], v[10:11] offset0:12 offset1:18
	ds_write2st64_b64 v124, v[28:29], v[22:23] offset0:26 offset1:32
	;; [unrolled: 1-line block ×3, first 2 shown]
	s_waitcnt lgkmcnt(0)
	s_barrier
	buffer_gl0_inv
	ds_read2st64_b64 v[10:13], v124 offset0:24 offset1:28
	ds_read2st64_b64 v[14:17], v124 offset0:32 offset1:36
	;; [unrolled: 1-line block ×3, first 2 shown]
	ds_read2st64_b64 v[22:25], v124 offset1:4
	ds_read2st64_b64 v[26:29], v124 offset0:8 offset1:12
	ds_read2st64_b64 v[30:33], v124 offset0:16 offset1:20
	v_add_co_u32 v6, vcc_lo, v4, s2
	v_add_co_ci_u32_e32 v7, vcc_lo, s3, v5, vcc_lo
	v_add_co_u32 v8, vcc_lo, v6, s2
	v_add_co_ci_u32_e32 v9, vcc_lo, s3, v7, vcc_lo
	v_add_co_u32 v34, vcc_lo, v8, s2
	v_add_co_ci_u32_e32 v35, vcc_lo, s3, v9, vcc_lo
	s_waitcnt lgkmcnt(5)
	v_mul_f32_e32 v38, v115, v11
	v_mul_f32_e32 v39, v115, v10
	v_mul_f32_e32 v40, v113, v13
	v_mul_f32_e32 v41, v113, v12
	s_waitcnt lgkmcnt(4)
	v_mul_f32_e32 v42, v111, v15
	v_mul_f32_e32 v43, v111, v14
	v_mul_f32_e32 v44, v119, v17
	v_mul_f32_e32 v45, v119, v16
	;; [unrolled: 5-line block ×3, first 2 shown]
	v_fmac_f32_e32 v38, v114, v10
	v_fma_f32 v11, v114, v11, -v39
	v_fmac_f32_e32 v40, v112, v12
	v_fma_f32 v13, v112, v13, -v41
	;; [unrolled: 2-line block ×6, first 2 shown]
	s_waitcnt lgkmcnt(2)
	v_sub_f32_e32 v10, v22, v38
	v_sub_f32_e32 v11, v23, v11
	v_sub_f32_e32 v12, v24, v40
	v_sub_f32_e32 v13, v25, v13
	s_waitcnt lgkmcnt(1)
	v_sub_f32_e32 v14, v26, v42
	v_sub_f32_e32 v15, v27, v15
	v_sub_f32_e32 v16, v28, v44
	v_sub_f32_e32 v17, v29, v17
	;; [unrolled: 5-line block ×3, first 2 shown]
	v_fma_f32 v22, v22, 2.0, -v10
	v_fma_f32 v23, v23, 2.0, -v11
	;; [unrolled: 1-line block ×12, first 2 shown]
	ds_write2st64_b64 v124, v[10:11], v[12:13] offset0:24 offset1:28
	ds_write2st64_b64 v124, v[14:15], v[16:17] offset0:32 offset1:36
	;; [unrolled: 1-line block ×3, first 2 shown]
	ds_write2st64_b64 v124, v[22:23], v[24:25] offset1:4
	ds_write2st64_b64 v124, v[26:27], v[28:29] offset0:8 offset1:12
	ds_write2st64_b64 v124, v[30:31], v[32:33] offset0:16 offset1:20
	s_waitcnt lgkmcnt(0)
	s_barrier
	buffer_gl0_inv
	ds_read2st64_b64 v[10:13], v124 offset1:4
	ds_read2st64_b64 v[14:17], v124 offset0:8 offset1:12
	ds_read2st64_b64 v[18:21], v124 offset0:16 offset1:20
	;; [unrolled: 1-line block ×5, first 2 shown]
	v_mad_u64_u32 v[36:37], null, 0xffffb800, s0, v[34:35]
	s_sub_i32 s0, s1, s0
	v_add_nc_u32_e32 v37, s0, v37
	s_mov_b32 s0, 0x55555555
	s_mov_b32 s1, 0x3f355555
	v_add_co_u32 v38, vcc_lo, v36, s2
	v_add_co_ci_u32_e32 v39, vcc_lo, s3, v37, vcc_lo
	s_waitcnt lgkmcnt(5)
	v_mul_f32_e32 v42, v64, v11
	v_mul_f32_e32 v43, v64, v10
	s_waitcnt lgkmcnt(4)
	v_mul_f32_e32 v44, v62, v15
	v_mul_f32_e32 v45, v62, v14
	;; [unrolled: 3-line block ×6, first 2 shown]
	v_mul_f32_e32 v54, v72, v13
	v_mul_f32_e32 v55, v72, v12
	v_fmac_f32_e32 v42, v63, v10
	v_fma_f32 v43, v63, v11, -v43
	v_mul_f32_e32 v56, v74, v17
	v_mul_f32_e32 v57, v74, v16
	v_fmac_f32_e32 v44, v61, v14
	v_fma_f32 v45, v61, v15, -v45
	;; [unrolled: 4-line block ×6, first 2 shown]
	v_fmac_f32_e32 v54, v71, v12
	v_fma_f32 v55, v71, v13, -v55
	v_cvt_f64_f32_e32 v[10:11], v42
	v_cvt_f64_f32_e32 v[12:13], v43
	v_fmac_f32_e32 v56, v73, v16
	v_fma_f32 v57, v73, v17, -v57
	v_cvt_f64_f32_e32 v[14:15], v44
	v_cvt_f64_f32_e32 v[16:17], v45
	;; [unrolled: 4-line block ×6, first 2 shown]
	v_cvt_f64_f32_e32 v[42:43], v54
	v_cvt_f64_f32_e32 v[44:45], v55
	;; [unrolled: 1-line block ×12, first 2 shown]
	v_mul_f64 v[10:11], v[10:11], s[0:1]
	v_mul_f64 v[12:13], v[12:13], s[0:1]
	;; [unrolled: 1-line block ×24, first 2 shown]
	v_cvt_f32_f64_e32 v10, v[10:11]
	v_cvt_f32_f64_e32 v11, v[12:13]
	;; [unrolled: 1-line block ×10, first 2 shown]
	v_add_co_u32 v40, vcc_lo, v38, s2
	v_cvt_f32_f64_e32 v20, v[30:31]
	v_cvt_f32_f64_e32 v21, v[32:33]
	;; [unrolled: 1-line block ×4, first 2 shown]
	v_add_co_ci_u32_e32 v41, vcc_lo, s3, v39, vcc_lo
	v_cvt_f32_f64_e32 v24, v[46:47]
	v_cvt_f32_f64_e32 v25, v[48:49]
	;; [unrolled: 1-line block ×8, first 2 shown]
	v_add_co_u32 v42, vcc_lo, v40, s2
	v_cvt_f32_f64_e32 v32, v[62:63]
	v_cvt_f32_f64_e32 v33, v[64:65]
	v_add_co_ci_u32_e32 v43, vcc_lo, s3, v41, vcc_lo
	v_add_co_u32 v44, vcc_lo, v42, s2
	v_add_co_ci_u32_e32 v45, vcc_lo, s3, v43, vcc_lo
	v_add_co_u32 v46, vcc_lo, v44, s2
	v_add_co_ci_u32_e32 v47, vcc_lo, s3, v45, vcc_lo
	global_store_dwordx2 v[0:1], v[10:11], off
	global_store_dwordx2 v[2:3], v[12:13], off
	;; [unrolled: 1-line block ×12, first 2 shown]
.LBB0_2:
	s_endpgm
	.section	.rodata,"a",@progbits
	.p2align	6, 0x0
	.amdhsa_kernel bluestein_single_fwd_len3072_dim1_sp_op_CI_CI
		.amdhsa_group_segment_fixed_size 24576
		.amdhsa_private_segment_fixed_size 0
		.amdhsa_kernarg_size 104
		.amdhsa_user_sgpr_count 6
		.amdhsa_user_sgpr_private_segment_buffer 1
		.amdhsa_user_sgpr_dispatch_ptr 0
		.amdhsa_user_sgpr_queue_ptr 0
		.amdhsa_user_sgpr_kernarg_segment_ptr 1
		.amdhsa_user_sgpr_dispatch_id 0
		.amdhsa_user_sgpr_flat_scratch_init 0
		.amdhsa_user_sgpr_private_segment_size 0
		.amdhsa_wavefront_size32 1
		.amdhsa_uses_dynamic_stack 0
		.amdhsa_system_sgpr_private_segment_wavefront_offset 0
		.amdhsa_system_sgpr_workgroup_id_x 1
		.amdhsa_system_sgpr_workgroup_id_y 0
		.amdhsa_system_sgpr_workgroup_id_z 0
		.amdhsa_system_sgpr_workgroup_info 0
		.amdhsa_system_vgpr_workitem_id 0
		.amdhsa_next_free_vgpr 182
		.amdhsa_next_free_sgpr 20
		.amdhsa_reserve_vcc 1
		.amdhsa_reserve_flat_scratch 0
		.amdhsa_float_round_mode_32 0
		.amdhsa_float_round_mode_16_64 0
		.amdhsa_float_denorm_mode_32 3
		.amdhsa_float_denorm_mode_16_64 3
		.amdhsa_dx10_clamp 1
		.amdhsa_ieee_mode 1
		.amdhsa_fp16_overflow 0
		.amdhsa_workgroup_processor_mode 1
		.amdhsa_memory_ordered 1
		.amdhsa_forward_progress 0
		.amdhsa_shared_vgpr_count 0
		.amdhsa_exception_fp_ieee_invalid_op 0
		.amdhsa_exception_fp_denorm_src 0
		.amdhsa_exception_fp_ieee_div_zero 0
		.amdhsa_exception_fp_ieee_overflow 0
		.amdhsa_exception_fp_ieee_underflow 0
		.amdhsa_exception_fp_ieee_inexact 0
		.amdhsa_exception_int_div_zero 0
	.end_amdhsa_kernel
	.text
.Lfunc_end0:
	.size	bluestein_single_fwd_len3072_dim1_sp_op_CI_CI, .Lfunc_end0-bluestein_single_fwd_len3072_dim1_sp_op_CI_CI
                                        ; -- End function
	.section	.AMDGPU.csdata,"",@progbits
; Kernel info:
; codeLenInByte = 10684
; NumSgprs: 22
; NumVgprs: 182
; ScratchSize: 0
; MemoryBound: 0
; FloatMode: 240
; IeeeMode: 1
; LDSByteSize: 24576 bytes/workgroup (compile time only)
; SGPRBlocks: 2
; VGPRBlocks: 22
; NumSGPRsForWavesPerEU: 22
; NumVGPRsForWavesPerEU: 182
; Occupancy: 5
; WaveLimiterHint : 1
; COMPUTE_PGM_RSRC2:SCRATCH_EN: 0
; COMPUTE_PGM_RSRC2:USER_SGPR: 6
; COMPUTE_PGM_RSRC2:TRAP_HANDLER: 0
; COMPUTE_PGM_RSRC2:TGID_X_EN: 1
; COMPUTE_PGM_RSRC2:TGID_Y_EN: 0
; COMPUTE_PGM_RSRC2:TGID_Z_EN: 0
; COMPUTE_PGM_RSRC2:TIDIG_COMP_CNT: 0
	.text
	.p2alignl 6, 3214868480
	.fill 48, 4, 3214868480
	.type	__hip_cuid_607a538d82fdf9b5,@object ; @__hip_cuid_607a538d82fdf9b5
	.section	.bss,"aw",@nobits
	.globl	__hip_cuid_607a538d82fdf9b5
__hip_cuid_607a538d82fdf9b5:
	.byte	0                               ; 0x0
	.size	__hip_cuid_607a538d82fdf9b5, 1

	.ident	"AMD clang version 19.0.0git (https://github.com/RadeonOpenCompute/llvm-project roc-6.4.0 25133 c7fe45cf4b819c5991fe208aaa96edf142730f1d)"
	.section	".note.GNU-stack","",@progbits
	.addrsig
	.addrsig_sym __hip_cuid_607a538d82fdf9b5
	.amdgpu_metadata
---
amdhsa.kernels:
  - .args:
      - .actual_access:  read_only
        .address_space:  global
        .offset:         0
        .size:           8
        .value_kind:     global_buffer
      - .actual_access:  read_only
        .address_space:  global
        .offset:         8
        .size:           8
        .value_kind:     global_buffer
      - .actual_access:  read_only
        .address_space:  global
        .offset:         16
        .size:           8
        .value_kind:     global_buffer
      - .actual_access:  read_only
        .address_space:  global
        .offset:         24
        .size:           8
        .value_kind:     global_buffer
      - .actual_access:  read_only
        .address_space:  global
        .offset:         32
        .size:           8
        .value_kind:     global_buffer
      - .offset:         40
        .size:           8
        .value_kind:     by_value
      - .address_space:  global
        .offset:         48
        .size:           8
        .value_kind:     global_buffer
      - .address_space:  global
        .offset:         56
        .size:           8
        .value_kind:     global_buffer
      - .address_space:  global
        .offset:         64
        .size:           8
        .value_kind:     global_buffer
      - .address_space:  global
        .offset:         72
        .size:           8
        .value_kind:     global_buffer
      - .offset:         80
        .size:           4
        .value_kind:     by_value
      - .address_space:  global
        .offset:         88
        .size:           8
        .value_kind:     global_buffer
      - .address_space:  global
        .offset:         96
        .size:           8
        .value_kind:     global_buffer
    .group_segment_fixed_size: 24576
    .kernarg_segment_align: 8
    .kernarg_segment_size: 104
    .language:       OpenCL C
    .language_version:
      - 2
      - 0
    .max_flat_workgroup_size: 256
    .name:           bluestein_single_fwd_len3072_dim1_sp_op_CI_CI
    .private_segment_fixed_size: 0
    .sgpr_count:     22
    .sgpr_spill_count: 0
    .symbol:         bluestein_single_fwd_len3072_dim1_sp_op_CI_CI.kd
    .uniform_work_group_size: 1
    .uses_dynamic_stack: false
    .vgpr_count:     182
    .vgpr_spill_count: 0
    .wavefront_size: 32
    .workgroup_processor_mode: 1
amdhsa.target:   amdgcn-amd-amdhsa--gfx1030
amdhsa.version:
  - 1
  - 2
...

	.end_amdgpu_metadata
